;; amdgpu-corpus repo=ROCm/rocFFT kind=compiled arch=gfx1030 opt=O3
	.text
	.amdgcn_target "amdgcn-amd-amdhsa--gfx1030"
	.amdhsa_code_object_version 6
	.protected	fft_rtc_back_len1800_factors_10_6_10_3_wgs_180_tpt_180_halfLds_dp_ip_CI_unitstride_sbrr_C2R_dirReg ; -- Begin function fft_rtc_back_len1800_factors_10_6_10_3_wgs_180_tpt_180_halfLds_dp_ip_CI_unitstride_sbrr_C2R_dirReg
	.globl	fft_rtc_back_len1800_factors_10_6_10_3_wgs_180_tpt_180_halfLds_dp_ip_CI_unitstride_sbrr_C2R_dirReg
	.p2align	8
	.type	fft_rtc_back_len1800_factors_10_6_10_3_wgs_180_tpt_180_halfLds_dp_ip_CI_unitstride_sbrr_C2R_dirReg,@function
fft_rtc_back_len1800_factors_10_6_10_3_wgs_180_tpt_180_halfLds_dp_ip_CI_unitstride_sbrr_C2R_dirReg: ; @fft_rtc_back_len1800_factors_10_6_10_3_wgs_180_tpt_180_halfLds_dp_ip_CI_unitstride_sbrr_C2R_dirReg
; %bb.0:
	s_clause 0x2
	s_load_dwordx4 s[8:11], s[4:5], 0x0
	s_load_dwordx2 s[2:3], s[4:5], 0x50
	s_load_dwordx2 s[12:13], s[4:5], 0x18
	v_mul_u32_u24_e32 v1, 0x16d, v0
	v_mov_b32_e32 v3, 0
	v_add_nc_u32_sdwa v5, s6, v1 dst_sel:DWORD dst_unused:UNUSED_PAD src0_sel:DWORD src1_sel:WORD_1
	v_mov_b32_e32 v1, 0
	v_mov_b32_e32 v6, v3
	v_mov_b32_e32 v2, 0
	s_waitcnt lgkmcnt(0)
	v_cmp_lt_u64_e64 s0, s[10:11], 2
	s_and_b32 vcc_lo, exec_lo, s0
	s_cbranch_vccnz .LBB0_8
; %bb.1:
	s_load_dwordx2 s[0:1], s[4:5], 0x10
	v_mov_b32_e32 v1, 0
	s_add_u32 s6, s12, 8
	v_mov_b32_e32 v2, 0
	s_addc_u32 s7, s13, 0
	s_mov_b64 s[16:17], 1
	s_waitcnt lgkmcnt(0)
	s_add_u32 s14, s0, 8
	s_addc_u32 s15, s1, 0
.LBB0_2:                                ; =>This Inner Loop Header: Depth=1
	s_load_dwordx2 s[18:19], s[14:15], 0x0
                                        ; implicit-def: $vgpr7_vgpr8
	s_mov_b32 s0, exec_lo
	s_waitcnt lgkmcnt(0)
	v_or_b32_e32 v4, s19, v6
	v_cmpx_ne_u64_e32 0, v[3:4]
	s_xor_b32 s1, exec_lo, s0
	s_cbranch_execz .LBB0_4
; %bb.3:                                ;   in Loop: Header=BB0_2 Depth=1
	v_cvt_f32_u32_e32 v4, s18
	v_cvt_f32_u32_e32 v7, s19
	s_sub_u32 s0, 0, s18
	s_subb_u32 s20, 0, s19
	v_fmac_f32_e32 v4, 0x4f800000, v7
	v_rcp_f32_e32 v4, v4
	v_mul_f32_e32 v4, 0x5f7ffffc, v4
	v_mul_f32_e32 v7, 0x2f800000, v4
	v_trunc_f32_e32 v7, v7
	v_fmac_f32_e32 v4, 0xcf800000, v7
	v_cvt_u32_f32_e32 v7, v7
	v_cvt_u32_f32_e32 v4, v4
	v_mul_lo_u32 v8, s0, v7
	v_mul_hi_u32 v9, s0, v4
	v_mul_lo_u32 v10, s20, v4
	v_add_nc_u32_e32 v8, v9, v8
	v_mul_lo_u32 v9, s0, v4
	v_add_nc_u32_e32 v8, v8, v10
	v_mul_hi_u32 v10, v4, v9
	v_mul_lo_u32 v11, v4, v8
	v_mul_hi_u32 v12, v4, v8
	v_mul_hi_u32 v13, v7, v9
	v_mul_lo_u32 v9, v7, v9
	v_mul_hi_u32 v14, v7, v8
	v_mul_lo_u32 v8, v7, v8
	v_add_co_u32 v10, vcc_lo, v10, v11
	v_add_co_ci_u32_e32 v11, vcc_lo, 0, v12, vcc_lo
	v_add_co_u32 v9, vcc_lo, v10, v9
	v_add_co_ci_u32_e32 v9, vcc_lo, v11, v13, vcc_lo
	v_add_co_ci_u32_e32 v10, vcc_lo, 0, v14, vcc_lo
	v_add_co_u32 v8, vcc_lo, v9, v8
	v_add_co_ci_u32_e32 v9, vcc_lo, 0, v10, vcc_lo
	v_add_co_u32 v4, vcc_lo, v4, v8
	v_add_co_ci_u32_e32 v7, vcc_lo, v7, v9, vcc_lo
	v_mul_hi_u32 v8, s0, v4
	v_mul_lo_u32 v10, s20, v4
	v_mul_lo_u32 v9, s0, v7
	v_add_nc_u32_e32 v8, v8, v9
	v_mul_lo_u32 v9, s0, v4
	v_add_nc_u32_e32 v8, v8, v10
	v_mul_hi_u32 v10, v4, v9
	v_mul_lo_u32 v11, v4, v8
	v_mul_hi_u32 v12, v4, v8
	v_mul_hi_u32 v13, v7, v9
	v_mul_lo_u32 v9, v7, v9
	v_mul_hi_u32 v14, v7, v8
	v_mul_lo_u32 v8, v7, v8
	v_add_co_u32 v10, vcc_lo, v10, v11
	v_add_co_ci_u32_e32 v11, vcc_lo, 0, v12, vcc_lo
	v_add_co_u32 v9, vcc_lo, v10, v9
	v_add_co_ci_u32_e32 v9, vcc_lo, v11, v13, vcc_lo
	v_add_co_ci_u32_e32 v10, vcc_lo, 0, v14, vcc_lo
	v_add_co_u32 v8, vcc_lo, v9, v8
	v_add_co_ci_u32_e32 v9, vcc_lo, 0, v10, vcc_lo
	v_add_co_u32 v4, vcc_lo, v4, v8
	v_add_co_ci_u32_e32 v11, vcc_lo, v7, v9, vcc_lo
	v_mul_hi_u32 v13, v5, v4
	v_mad_u64_u32 v[9:10], null, v6, v4, 0
	v_mad_u64_u32 v[7:8], null, v5, v11, 0
	;; [unrolled: 1-line block ×3, first 2 shown]
	v_add_co_u32 v4, vcc_lo, v13, v7
	v_add_co_ci_u32_e32 v7, vcc_lo, 0, v8, vcc_lo
	v_add_co_u32 v4, vcc_lo, v4, v9
	v_add_co_ci_u32_e32 v4, vcc_lo, v7, v10, vcc_lo
	v_add_co_ci_u32_e32 v7, vcc_lo, 0, v12, vcc_lo
	v_add_co_u32 v4, vcc_lo, v4, v11
	v_add_co_ci_u32_e32 v9, vcc_lo, 0, v7, vcc_lo
	v_mul_lo_u32 v10, s19, v4
	v_mad_u64_u32 v[7:8], null, s18, v4, 0
	v_mul_lo_u32 v11, s18, v9
	v_sub_co_u32 v7, vcc_lo, v5, v7
	v_add3_u32 v8, v8, v11, v10
	v_sub_nc_u32_e32 v10, v6, v8
	v_subrev_co_ci_u32_e64 v10, s0, s19, v10, vcc_lo
	v_add_co_u32 v11, s0, v4, 2
	v_add_co_ci_u32_e64 v12, s0, 0, v9, s0
	v_sub_co_u32 v13, s0, v7, s18
	v_sub_co_ci_u32_e32 v8, vcc_lo, v6, v8, vcc_lo
	v_subrev_co_ci_u32_e64 v10, s0, 0, v10, s0
	v_cmp_le_u32_e32 vcc_lo, s18, v13
	v_cmp_eq_u32_e64 s0, s19, v8
	v_cndmask_b32_e64 v13, 0, -1, vcc_lo
	v_cmp_le_u32_e32 vcc_lo, s19, v10
	v_cndmask_b32_e64 v14, 0, -1, vcc_lo
	v_cmp_le_u32_e32 vcc_lo, s18, v7
	;; [unrolled: 2-line block ×3, first 2 shown]
	v_cndmask_b32_e64 v15, 0, -1, vcc_lo
	v_cmp_eq_u32_e32 vcc_lo, s19, v10
	v_cndmask_b32_e64 v7, v15, v7, s0
	v_cndmask_b32_e32 v10, v14, v13, vcc_lo
	v_add_co_u32 v13, vcc_lo, v4, 1
	v_add_co_ci_u32_e32 v14, vcc_lo, 0, v9, vcc_lo
	v_cmp_ne_u32_e32 vcc_lo, 0, v10
	v_cndmask_b32_e32 v8, v14, v12, vcc_lo
	v_cndmask_b32_e32 v10, v13, v11, vcc_lo
	v_cmp_ne_u32_e32 vcc_lo, 0, v7
	v_cndmask_b32_e32 v8, v9, v8, vcc_lo
	v_cndmask_b32_e32 v7, v4, v10, vcc_lo
.LBB0_4:                                ;   in Loop: Header=BB0_2 Depth=1
	s_andn2_saveexec_b32 s0, s1
	s_cbranch_execz .LBB0_6
; %bb.5:                                ;   in Loop: Header=BB0_2 Depth=1
	v_cvt_f32_u32_e32 v4, s18
	s_sub_i32 s1, 0, s18
	v_rcp_iflag_f32_e32 v4, v4
	v_mul_f32_e32 v4, 0x4f7ffffe, v4
	v_cvt_u32_f32_e32 v4, v4
	v_mul_lo_u32 v7, s1, v4
	v_mul_hi_u32 v7, v4, v7
	v_add_nc_u32_e32 v4, v4, v7
	v_mul_hi_u32 v4, v5, v4
	v_mul_lo_u32 v7, v4, s18
	v_add_nc_u32_e32 v8, 1, v4
	v_sub_nc_u32_e32 v7, v5, v7
	v_subrev_nc_u32_e32 v9, s18, v7
	v_cmp_le_u32_e32 vcc_lo, s18, v7
	v_cndmask_b32_e32 v7, v7, v9, vcc_lo
	v_cndmask_b32_e32 v4, v4, v8, vcc_lo
	v_cmp_le_u32_e32 vcc_lo, s18, v7
	v_add_nc_u32_e32 v8, 1, v4
	v_cndmask_b32_e32 v7, v4, v8, vcc_lo
	v_mov_b32_e32 v8, v3
.LBB0_6:                                ;   in Loop: Header=BB0_2 Depth=1
	s_or_b32 exec_lo, exec_lo, s0
	s_load_dwordx2 s[0:1], s[6:7], 0x0
	v_mul_lo_u32 v4, v8, s18
	v_mul_lo_u32 v11, v7, s19
	v_mad_u64_u32 v[9:10], null, v7, s18, 0
	s_add_u32 s16, s16, 1
	s_addc_u32 s17, s17, 0
	s_add_u32 s6, s6, 8
	s_addc_u32 s7, s7, 0
	;; [unrolled: 2-line block ×3, first 2 shown]
	v_add3_u32 v4, v10, v11, v4
	v_sub_co_u32 v5, vcc_lo, v5, v9
	v_sub_co_ci_u32_e32 v4, vcc_lo, v6, v4, vcc_lo
	s_waitcnt lgkmcnt(0)
	v_mul_lo_u32 v6, s1, v5
	v_mul_lo_u32 v4, s0, v4
	v_mad_u64_u32 v[1:2], null, s0, v5, v[1:2]
	v_cmp_ge_u64_e64 s0, s[16:17], s[10:11]
	s_and_b32 vcc_lo, exec_lo, s0
	v_add3_u32 v2, v6, v2, v4
	s_cbranch_vccnz .LBB0_9
; %bb.7:                                ;   in Loop: Header=BB0_2 Depth=1
	v_mov_b32_e32 v5, v7
	v_mov_b32_e32 v6, v8
	s_branch .LBB0_2
.LBB0_8:
	v_mov_b32_e32 v8, v6
	v_mov_b32_e32 v7, v5
.LBB0_9:
	s_lshl_b64 s[0:1], s[10:11], 3
	v_mul_hi_u32 v5, 0x16c16c2, v0
	s_add_u32 s0, s12, s0
	s_addc_u32 s1, s13, s1
	s_load_dwordx2 s[0:1], s[0:1], 0x0
	s_load_dwordx2 s[4:5], s[4:5], 0x20
	s_waitcnt lgkmcnt(0)
	v_mul_lo_u32 v3, s0, v8
	v_mul_lo_u32 v4, s1, v7
	v_mad_u64_u32 v[1:2], null, s0, v7, v[1:2]
	v_cmp_gt_u64_e32 vcc_lo, s[4:5], v[7:8]
	v_add3_u32 v2, v4, v2, v3
	v_mul_u32_u24_e32 v3, 0xb4, v5
	v_lshlrev_b64 v[50:51], 4, v[1:2]
	v_sub_nc_u32_e32 v48, v0, v3
	s_and_saveexec_b32 s1, vcc_lo
	s_cbranch_execz .LBB0_13
; %bb.10:
	v_mov_b32_e32 v49, 0
	v_add_co_u32 v0, s0, s2, v50
	v_add_co_ci_u32_e64 v1, s0, s3, v51, s0
	v_lshlrev_b64 v[2:3], 4, v[48:49]
	v_lshl_add_u32 v42, v48, 4, 0
	s_mov_b32 s4, exec_lo
	v_add_co_u32 v18, s0, v0, v2
	v_add_co_ci_u32_e64 v19, s0, v1, v3, s0
	v_add_co_u32 v6, s0, 0x800, v18
	v_add_co_ci_u32_e64 v7, s0, 0, v19, s0
	;; [unrolled: 2-line block ×10, first 2 shown]
	s_clause 0x9
	global_load_dwordx4 v[2:5], v[18:19], off
	global_load_dwordx4 v[6:9], v[6:7], off offset:832
	global_load_dwordx4 v[10:13], v[10:11], off offset:1664
	;; [unrolled: 1-line block ×9, first 2 shown]
	s_waitcnt vmcnt(9)
	ds_write_b128 v42, v[2:5]
	s_waitcnt vmcnt(8)
	ds_write_b128 v42, v[6:9] offset:2880
	s_waitcnt vmcnt(7)
	ds_write_b128 v42, v[10:13] offset:5760
	;; [unrolled: 2-line block ×9, first 2 shown]
	v_cmpx_eq_u32_e32 0xb3, v48
	s_cbranch_execz .LBB0_12
; %bb.11:
	v_add_co_u32 v0, s0, 0x7000, v0
	v_add_co_ci_u32_e64 v1, s0, 0, v1, s0
	v_mov_b32_e32 v48, 0xb3
	global_load_dwordx4 v[0:3], v[0:1], off offset:128
	s_waitcnt vmcnt(0)
	ds_write_b128 v49, v[0:3] offset:28800
.LBB0_12:
	s_or_b32 exec_lo, exec_lo, s4
.LBB0_13:
	s_or_b32 exec_lo, exec_lo, s1
	v_lshlrev_b32_e32 v0, 4, v48
	s_waitcnt lgkmcnt(0)
	s_barrier
	buffer_gl0_inv
	s_add_u32 s1, s8, 0x6fe0
	v_add_nc_u32_e32 v59, 0, v0
	v_sub_nc_u32_e32 v8, 0, v0
	s_addc_u32 s4, s9, 0
	s_mov_b32 s5, exec_lo
	ds_read_b64 v[4:5], v59
	ds_read_b64 v[6:7], v8 offset:28800
	s_waitcnt lgkmcnt(0)
	v_add_f64 v[0:1], v[4:5], v[6:7]
	v_add_f64 v[2:3], v[4:5], -v[6:7]
	v_cmpx_ne_u32_e32 0, v48
	s_xor_b32 s5, exec_lo, s5
	s_cbranch_execz .LBB0_15
; %bb.14:
	v_mov_b32_e32 v49, 0
	v_add_f64 v[13:14], v[4:5], v[6:7]
	v_add_f64 v[15:16], v[4:5], -v[6:7]
	v_lshlrev_b64 v[0:1], 4, v[48:49]
	v_add_co_u32 v0, s0, s1, v0
	v_add_co_ci_u32_e64 v1, s0, s4, v1, s0
	global_load_dwordx4 v[9:12], v[0:1], off
	ds_read_b64 v[0:1], v8 offset:28808
	ds_read_b64 v[2:3], v59 offset:8
	s_waitcnt lgkmcnt(0)
	v_add_f64 v[4:5], v[0:1], v[2:3]
	v_add_f64 v[0:1], v[2:3], -v[0:1]
	s_waitcnt vmcnt(0)
	v_fma_f64 v[2:3], v[15:16], v[11:12], v[13:14]
	v_fma_f64 v[6:7], -v[15:16], v[11:12], v[13:14]
	v_fma_f64 v[13:14], v[4:5], v[11:12], -v[0:1]
	v_fma_f64 v[11:12], v[4:5], v[11:12], v[0:1]
	v_fma_f64 v[0:1], -v[4:5], v[9:10], v[2:3]
	v_fma_f64 v[4:5], v[4:5], v[9:10], v[6:7]
	v_fma_f64 v[6:7], v[15:16], v[9:10], v[13:14]
	;; [unrolled: 1-line block ×3, first 2 shown]
	ds_write_b128 v8, v[4:7] offset:28800
.LBB0_15:
	s_andn2_saveexec_b32 s0, s5
	s_cbranch_execz .LBB0_17
; %bb.16:
	v_mov_b32_e32 v9, 0
	ds_read_b128 v[4:7], v9 offset:14400
	s_waitcnt lgkmcnt(0)
	v_add_f64 v[4:5], v[4:5], v[4:5]
	v_mul_f64 v[6:7], v[6:7], -2.0
	ds_write_b128 v9, v[4:7] offset:14400
.LBB0_17:
	s_or_b32 exec_lo, exec_lo, s0
	v_add_nc_u32_e32 v54, 0xb4, v48
	v_mov_b32_e32 v55, 0
	v_add_nc_u32_e32 v56, 0x168, v48
	v_add_nc_u32_e32 v52, 0x21c, v48
	;; [unrolled: 1-line block ×3, first 2 shown]
	ds_write_b128 v59, v[0:3]
	v_lshlrev_b64 v[4:5], 4, v[54:55]
	v_mov_b32_e32 v57, v55
	v_mov_b32_e32 v53, v55
	;; [unrolled: 1-line block ×3, first 2 shown]
	s_mov_b32 s6, 0x134454ff
	s_mov_b32 s7, 0xbfee6f0e
	v_add_co_u32 v4, s0, s1, v4
	v_add_co_ci_u32_e64 v5, s0, s4, v5, s0
	v_lshlrev_b64 v[9:10], 4, v[56:57]
	v_lshlrev_b64 v[13:14], 4, v[52:53]
	;; [unrolled: 1-line block ×3, first 2 shown]
	global_load_dwordx4 v[4:7], v[4:5], off
	s_mov_b32 s10, 0x4755a5e
	s_mov_b32 s11, 0xbfe2cf23
	v_add_co_u32 v9, s0, s1, v9
	v_add_co_ci_u32_e64 v10, s0, s4, v10, s0
	v_add_co_u32 v13, s0, s1, v13
	v_add_co_ci_u32_e64 v14, s0, s4, v14, s0
	global_load_dwordx4 v[9:12], v[9:10], off
	v_add_co_u32 v21, s0, s1, v17
	global_load_dwordx4 v[13:16], v[13:14], off
	v_add_co_ci_u32_e64 v22, s0, s4, v18, s0
	ds_read_b128 v[0:3], v59 offset:2880
	ds_read_b128 v[17:20], v8 offset:25920
	s_mov_b32 s1, 0x3fee6f0e
	s_mov_b32 s0, s6
	global_load_dwordx4 v[21:24], v[21:22], off
	s_mov_b32 s5, 0x3fe2cf23
	s_mov_b32 s4, s10
	;; [unrolled: 1-line block ×10, first 2 shown]
	s_waitcnt lgkmcnt(0)
	v_add_f64 v[25:26], v[0:1], v[17:18]
	v_add_f64 v[27:28], v[19:20], v[2:3]
	v_add_f64 v[29:30], v[0:1], -v[17:18]
	v_add_f64 v[0:1], v[2:3], -v[19:20]
	s_waitcnt vmcnt(3)
	v_fma_f64 v[2:3], v[29:30], v[6:7], v[25:26]
	v_fma_f64 v[17:18], v[27:28], v[6:7], v[0:1]
	v_fma_f64 v[19:20], -v[29:30], v[6:7], v[25:26]
	v_fma_f64 v[6:7], v[27:28], v[6:7], -v[0:1]
	v_fma_f64 v[0:1], -v[27:28], v[4:5], v[2:3]
	v_fma_f64 v[2:3], v[29:30], v[4:5], v[17:18]
	v_fma_f64 v[17:18], v[27:28], v[4:5], v[19:20]
	v_fma_f64 v[19:20], v[29:30], v[4:5], v[6:7]
	ds_write_b128 v59, v[0:3] offset:2880
	ds_write_b128 v8, v[17:20] offset:25920
	ds_read_b128 v[0:3], v59 offset:5760
	ds_read_b128 v[4:7], v8 offset:23040
	s_waitcnt lgkmcnt(0)
	v_add_f64 v[17:18], v[0:1], v[4:5]
	v_add_f64 v[19:20], v[6:7], v[2:3]
	v_add_f64 v[25:26], v[0:1], -v[4:5]
	v_add_f64 v[0:1], v[2:3], -v[6:7]
	s_waitcnt vmcnt(2)
	v_fma_f64 v[2:3], v[25:26], v[11:12], v[17:18]
	v_fma_f64 v[4:5], v[19:20], v[11:12], v[0:1]
	v_fma_f64 v[6:7], -v[25:26], v[11:12], v[17:18]
	v_fma_f64 v[11:12], v[19:20], v[11:12], -v[0:1]
	v_fma_f64 v[0:1], -v[19:20], v[9:10], v[2:3]
	v_fma_f64 v[2:3], v[25:26], v[9:10], v[4:5]
	v_fma_f64 v[4:5], v[19:20], v[9:10], v[6:7]
	v_fma_f64 v[6:7], v[25:26], v[9:10], v[11:12]
	ds_write_b128 v59, v[0:3] offset:5760
	ds_write_b128 v8, v[4:7] offset:23040
	ds_read_b128 v[0:3], v59 offset:8640
	ds_read_b128 v[4:7], v8 offset:20160
	;; [unrolled: 18-line block ×3, first 2 shown]
	s_waitcnt lgkmcnt(0)
	v_add_f64 v[9:10], v[0:1], v[4:5]
	v_add_f64 v[11:12], v[6:7], v[2:3]
	v_add_f64 v[13:14], v[0:1], -v[4:5]
	v_add_f64 v[0:1], v[2:3], -v[6:7]
	s_waitcnt vmcnt(0)
	v_fma_f64 v[2:3], v[13:14], v[23:24], v[9:10]
	v_fma_f64 v[4:5], v[11:12], v[23:24], v[0:1]
	v_fma_f64 v[6:7], -v[13:14], v[23:24], v[9:10]
	v_fma_f64 v[9:10], v[11:12], v[23:24], -v[0:1]
	v_fma_f64 v[0:1], -v[11:12], v[21:22], v[2:3]
	v_fma_f64 v[2:3], v[13:14], v[21:22], v[4:5]
	v_fma_f64 v[4:5], v[11:12], v[21:22], v[6:7]
	;; [unrolled: 1-line block ×3, first 2 shown]
	ds_write_b128 v59, v[0:3] offset:11520
	ds_write_b128 v8, v[4:7] offset:17280
	s_waitcnt lgkmcnt(0)
	s_barrier
	buffer_gl0_inv
	s_barrier
	buffer_gl0_inv
	ds_read_b128 v[0:3], v59 offset:8640
	ds_read_b128 v[4:7], v59 offset:14400
	;; [unrolled: 1-line block ×8, first 2 shown]
	ds_read_b128 v[32:35], v59
	ds_read_b128 v[36:39], v59 offset:2880
	s_waitcnt lgkmcnt(0)
	s_barrier
	buffer_gl0_inv
	v_add_f64 v[86:87], v[0:1], -v[4:5]
	v_add_f64 v[40:41], v[6:7], v[10:11]
	v_add_f64 v[42:43], v[2:3], v[14:15]
	;; [unrolled: 1-line block ×3, first 2 shown]
	v_add_f64 v[60:61], v[4:5], -v[8:9]
	v_add_f64 v[62:63], v[2:3], -v[14:15]
	;; [unrolled: 1-line block ×3, first 2 shown]
	v_add_f64 v[57:58], v[0:1], v[12:13]
	v_add_f64 v[46:47], v[16:17], v[20:21]
	;; [unrolled: 1-line block ×4, first 2 shown]
	v_add_f64 v[84:85], v[6:7], -v[10:11]
	v_add_f64 v[88:89], v[2:3], -v[6:7]
	v_add_f64 v[90:91], v[12:13], -v[8:9]
	v_add_f64 v[92:93], v[6:7], -v[2:3]
	v_add_f64 v[94:95], v[14:15], -v[10:11]
	v_add_f64 v[96:97], v[10:11], -v[14:15]
	v_add_f64 v[70:71], v[30:31], v[26:27]
	v_add_f64 v[72:73], v[32:33], v[28:29]
	;; [unrolled: 1-line block ×4, first 2 shown]
	v_add_f64 v[76:77], v[30:31], -v[26:27]
	v_add_f64 v[78:79], v[28:29], -v[16:17]
	v_fma_f64 v[40:41], v[40:41], -0.5, v[38:39]
	v_fma_f64 v[42:43], v[42:43], -0.5, v[38:39]
	;; [unrolled: 1-line block ×3, first 2 shown]
	v_add_f64 v[80:81], v[16:17], -v[28:29]
	v_add_f64 v[28:29], v[28:29], -v[24:25]
	;; [unrolled: 1-line block ×3, first 2 shown]
	v_fma_f64 v[57:58], v[57:58], -0.5, v[36:37]
	v_add_f64 v[36:37], v[36:37], v[0:1]
	v_fma_f64 v[46:47], v[46:47], -0.5, v[32:33]
	v_fma_f64 v[32:33], v[66:67], -0.5, v[32:33]
	;; [unrolled: 1-line block ×3, first 2 shown]
	v_add_f64 v[68:69], v[18:19], -v[22:23]
	v_add_f64 v[86:87], v[86:87], v[90:91]
	v_add_f64 v[104:105], v[24:25], -v[20:21]
	v_add_f64 v[88:89], v[88:89], v[94:95]
	v_add_f64 v[92:93], v[92:93], v[96:97]
	v_add_f64 v[0:1], v[4:5], -v[0:1]
	v_add_f64 v[106:107], v[8:9], -v[12:13]
	v_fma_f64 v[34:35], v[70:71], -0.5, v[34:35]
	v_add_f64 v[70:71], v[16:17], -v[20:21]
	v_add_f64 v[82:83], v[30:31], -v[18:19]
	;; [unrolled: 1-line block ×3, first 2 shown]
	v_fma_f64 v[98:99], v[64:65], s[0:1], v[40:41]
	v_fma_f64 v[100:101], v[60:61], s[6:7], v[42:43]
	v_fma_f64 v[102:103], v[62:63], s[6:7], v[44:45]
	v_fma_f64 v[42:43], v[60:61], s[0:1], v[42:43]
	v_fma_f64 v[40:41], v[64:65], s[6:7], v[40:41]
	v_fma_f64 v[44:45], v[62:63], s[0:1], v[44:45]
	v_fma_f64 v[94:95], v[84:85], s[0:1], v[57:58]
	v_fma_f64 v[57:58], v[84:85], s[6:7], v[57:58]
	v_add_f64 v[16:17], v[72:73], v[16:17]
	v_add_f64 v[18:19], v[74:75], v[18:19]
	v_add_f64 v[4:5], v[36:37], v[4:5]
	v_add_f64 v[2:3], v[2:3], v[6:7]
	v_add_f64 v[90:91], v[26:27], -v[22:23]
	v_add_f64 v[36:37], v[80:81], v[38:39]
	v_fma_f64 v[38:39], v[76:77], s[6:7], v[46:47]
	v_fma_f64 v[46:47], v[76:77], s[0:1], v[46:47]
	v_add_f64 v[6:7], v[78:79], v[104:105]
	v_add_f64 v[0:1], v[0:1], v[106:107]
	v_fma_f64 v[96:97], v[60:61], s[4:5], v[98:99]
	v_fma_f64 v[98:99], v[64:65], s[4:5], v[100:101]
	;; [unrolled: 1-line block ×9, first 2 shown]
	v_add_f64 v[102:103], v[22:23], -v[26:27]
	v_fma_f64 v[72:73], v[62:63], s[10:11], v[94:95]
	v_fma_f64 v[94:95], v[70:71], s[6:7], v[34:35]
	;; [unrolled: 1-line block ×5, first 2 shown]
	v_add_f64 v[16:17], v[16:17], v[20:21]
	v_add_f64 v[18:19], v[18:19], v[22:23]
	;; [unrolled: 1-line block ×5, first 2 shown]
	v_fma_f64 v[8:9], v[68:69], s[10:11], v[38:39]
	v_fma_f64 v[10:11], v[68:69], s[4:5], v[46:47]
	;; [unrolled: 1-line block ×11, first 2 shown]
	v_add_f64 v[30:31], v[30:31], v[102:103]
	v_fma_f64 v[46:47], v[0:1], s[12:13], v[72:73]
	v_fma_f64 v[68:69], v[28:29], s[4:5], v[94:95]
	;; [unrolled: 1-line block ×5, first 2 shown]
	v_add_f64 v[16:17], v[16:17], v[24:25]
	v_add_f64 v[18:19], v[18:19], v[26:27]
	v_add_f64 v[4:5], v[4:5], v[12:13]
	v_add_f64 v[2:3], v[2:3], v[14:15]
	v_fma_f64 v[8:9], v[6:7], s[12:13], v[8:9]
	v_fma_f64 v[6:7], v[6:7], s[12:13], v[10:11]
	v_mul_f64 v[60:61], v[74:75], s[10:11]
	v_mul_f64 v[64:65], v[78:79], s[6:7]
	;; [unrolled: 1-line block ×8, first 2 shown]
	v_fma_f64 v[10:11], v[62:63], s[12:13], v[32:33]
	v_fma_f64 v[24:25], v[36:37], s[12:13], v[20:21]
	;; [unrolled: 1-line block ×3, first 2 shown]
	v_add_f64 v[12:13], v[16:17], v[4:5]
	v_add_f64 v[14:15], v[18:19], v[2:3]
	v_add_f64 v[16:17], v[16:17], -v[4:5]
	v_add_f64 v[18:19], v[18:19], -v[2:3]
	v_fma_f64 v[26:27], v[80:81], s[18:19], v[60:61]
	v_fma_f64 v[60:61], v[46:47], s[12:13], v[64:65]
	;; [unrolled: 1-line block ×11, first 2 shown]
	v_cmp_gt_u32_e64 s0, 0x78, v48
	v_add_f64 v[20:21], v[8:9], v[26:27]
	v_add_f64 v[28:29], v[24:25], v[60:61]
	;; [unrolled: 1-line block ×3, first 2 shown]
	v_add_f64 v[10:11], v[10:11], -v[32:33]
	v_add_f64 v[8:9], v[8:9], -v[26:27]
	v_add_f64 v[30:31], v[36:37], v[46:47]
	v_add_f64 v[32:33], v[64:65], v[57:58]
	v_add_f64 v[2:3], v[36:37], -v[46:47]
	v_add_f64 v[34:35], v[66:67], v[42:43]
	v_add_f64 v[36:37], v[6:7], v[44:45]
	;; [unrolled: 1-line block ×3, first 2 shown]
	v_add_f64 v[0:1], v[24:25], -v[60:61]
	v_add_f64 v[4:5], v[64:65], -v[57:58]
	;; [unrolled: 1-line block ×5, first 2 shown]
	v_mad_u32_u24 v40, 0x90, v48, v59
	ds_write_b128 v40, v[12:15]
	ds_write_b128 v40, v[16:19] offset:80
	ds_write_b128 v40, v[20:23] offset:16
	;; [unrolled: 1-line block ×9, first 2 shown]
	s_waitcnt lgkmcnt(0)
	s_barrier
	buffer_gl0_inv
	ds_read_b128 v[12:15], v59
	ds_read_b128 v[16:19], v59 offset:4800
	ds_read_b128 v[44:47], v59 offset:9600
	;; [unrolled: 1-line block ×5, first 2 shown]
                                        ; implicit-def: $vgpr42_vgpr43
                                        ; implicit-def: $vgpr30_vgpr31
	s_and_saveexec_b32 s1, s0
	s_cbranch_execz .LBB0_19
; %bb.18:
	ds_read_b128 v[8:11], v59 offset:2880
	ds_read_b128 v[0:3], v59 offset:7680
	;; [unrolled: 1-line block ×6, first 2 shown]
.LBB0_19:
	s_or_b32 exec_lo, exec_lo, s1
	v_and_b32_e32 v53, 0xff, v48
	v_mov_b32_e32 v64, 5
	s_mov_b32 s4, 0xe8584caa
	s_mov_b32 s5, 0xbfebb67a
	;; [unrolled: 1-line block ×3, first 2 shown]
	v_mul_lo_u16 v49, 0xcd, v53
	s_mov_b32 s6, s4
	v_lshrrev_b16 v58, 11, v49
	v_mul_lo_u16 v49, v58, 10
	v_sub_nc_u16 v110, v48, v49
	v_mov_b32_e32 v49, 0xcccd
	v_mul_u32_u24_sdwa v55, v110, v64 dst_sel:DWORD dst_unused:UNUSED_PAD src0_sel:BYTE_0 src1_sel:DWORD
	v_mul_u32_u24_sdwa v49, v54, v49 dst_sel:DWORD dst_unused:UNUSED_PAD src0_sel:WORD_0 src1_sel:DWORD
	v_lshlrev_b32_e32 v88, 4, v55
	v_lshrrev_b32_e32 v55, 19, v49
	global_load_dwordx4 v[60:63], v88, s[8:9] offset:16
	v_mul_lo_u16 v49, v55, 10
	v_sub_nc_u16 v57, v54, v49
	v_mul_u32_u24_sdwa v49, v57, v64 dst_sel:DWORD dst_unused:UNUSED_PAD src0_sel:WORD_0 src1_sel:DWORD
	s_clause 0x1
	global_load_dwordx4 v[64:67], v88, s[8:9] offset:32
	global_load_dwordx4 v[68:71], v88, s[8:9] offset:64
	v_lshlrev_b32_e32 v49, 4, v49
	s_clause 0x6
	global_load_dwordx4 v[72:75], v49, s[8:9] offset:32
	global_load_dwordx4 v[76:79], v49, s[8:9] offset:64
	global_load_dwordx4 v[80:83], v88, s[8:9]
	global_load_dwordx4 v[84:87], v49, s[8:9]
	global_load_dwordx4 v[88:91], v88, s[8:9] offset:48
	global_load_dwordx4 v[92:95], v49, s[8:9] offset:16
	;; [unrolled: 1-line block ×3, first 2 shown]
	v_mov_b32_e32 v49, 4
	s_waitcnt vmcnt(0) lgkmcnt(0)
	s_barrier
	buffer_gl0_inv
	v_mul_f64 v[100:101], v[46:47], v[62:63]
	v_mul_f64 v[62:63], v[44:45], v[62:63]
	;; [unrolled: 1-line block ×6, first 2 shown]
	v_fma_f64 v[44:45], v[44:45], v[60:61], v[100:101]
	v_fma_f64 v[46:47], v[46:47], v[60:61], -v[62:63]
	v_mul_f64 v[60:61], v[24:25], v[74:75]
	v_mul_f64 v[62:63], v[40:41], v[78:79]
	;; [unrolled: 1-line block ×3, first 2 shown]
	v_fma_f64 v[102:103], v[36:37], v[64:65], v[102:103]
	v_fma_f64 v[38:39], v[38:39], v[64:65], -v[66:67]
	v_fma_f64 v[64:65], v[34:35], v[68:69], -v[104:105]
	v_mul_f64 v[36:37], v[26:27], v[74:75]
	v_mul_f64 v[66:67], v[0:1], v[86:87]
	;; [unrolled: 1-line block ×4, first 2 shown]
	v_fma_f64 v[34:35], v[26:27], v[72:73], -v[60:61]
	v_fma_f64 v[26:27], v[42:43], v[76:77], -v[62:63]
	v_mul_f64 v[42:43], v[22:23], v[90:91]
	v_fma_f64 v[60:61], v[32:33], v[68:69], v[70:71]
	v_mul_f64 v[62:63], v[20:21], v[90:91]
	v_mul_f64 v[68:69], v[18:19], v[82:83]
	;; [unrolled: 1-line block ×3, first 2 shown]
	v_fma_f64 v[78:79], v[18:19], v[80:81], -v[100:101]
	v_mul_f64 v[90:91], v[28:29], v[98:99]
	v_add_f64 v[82:83], v[38:39], v[64:65]
	v_fma_f64 v[18:19], v[24:25], v[72:73], v[36:37]
	v_mul_f64 v[36:37], v[4:5], v[94:95]
	v_mul_f64 v[72:73], v[30:31], v[98:99]
	v_fma_f64 v[24:25], v[40:41], v[76:77], v[74:75]
	v_fma_f64 v[32:33], v[2:3], v[84:85], -v[66:67]
	v_add_f64 v[2:3], v[34:35], v[26:27]
	v_fma_f64 v[40:41], v[20:21], v[88:89], v[42:43]
	v_add_f64 v[66:67], v[102:103], v[60:61]
	v_fma_f64 v[42:43], v[22:23], v[88:89], -v[62:63]
	v_fma_f64 v[62:63], v[16:17], v[80:81], v[68:69]
	v_add_f64 v[68:69], v[102:103], -v[60:61]
	v_fma_f64 v[20:21], v[4:5], v[92:93], v[70:71]
	v_fma_f64 v[22:23], v[30:31], v[96:97], -v[90:91]
	v_add_f64 v[70:71], v[38:39], -v[64:65]
	v_add_f64 v[80:81], v[34:35], -v[26:27]
	v_fma_f64 v[74:75], v[82:83], -0.5, v[78:79]
	v_add_f64 v[38:39], v[78:79], v[38:39]
	v_fma_f64 v[36:37], v[6:7], v[92:93], -v[36:37]
	v_fma_f64 v[16:17], v[28:29], v[96:97], v[72:73]
	v_fma_f64 v[28:29], v[0:1], v[84:85], v[86:87]
	v_add_f64 v[0:1], v[18:19], v[24:25]
	v_add_f64 v[4:5], v[18:19], -v[24:25]
	v_fma_f64 v[2:3], v[2:3], -0.5, v[32:33]
	v_add_f64 v[6:7], v[44:45], v[40:41]
	v_add_f64 v[30:31], v[46:47], v[42:43]
	v_fma_f64 v[66:67], v[66:67], -0.5, v[62:63]
	v_add_f64 v[84:85], v[46:47], -v[42:43]
	v_add_f64 v[46:47], v[14:15], v[46:47]
	v_add_f64 v[62:63], v[62:63], v[102:103]
	v_fma_f64 v[72:73], v[68:69], s[6:7], v[74:75]
	v_fma_f64 v[68:69], v[68:69], s[4:5], v[74:75]
	v_add_f64 v[76:77], v[36:37], v[22:23]
	v_add_f64 v[74:75], v[20:21], v[16:17]
	v_add_f64 v[78:79], v[36:37], -v[22:23]
	v_fma_f64 v[0:1], v[0:1], -0.5, v[28:29]
	v_add_f64 v[86:87], v[20:21], -v[16:17]
	v_add_f64 v[96:97], v[38:39], v[64:65]
	v_fma_f64 v[82:83], v[4:5], s[6:7], v[2:3]
	v_fma_f64 v[2:3], v[4:5], s[4:5], v[2:3]
	v_add_f64 v[4:5], v[12:13], v[44:45]
	v_add_f64 v[44:45], v[44:45], -v[40:41]
	v_fma_f64 v[6:7], v[6:7], -0.5, v[12:13]
	v_fma_f64 v[12:13], v[30:31], -0.5, v[14:15]
	v_fma_f64 v[14:15], v[70:71], s[4:5], v[66:67]
	v_fma_f64 v[30:31], v[70:71], s[6:7], v[66:67]
	v_add_f64 v[92:93], v[46:47], v[42:43]
	v_add_f64 v[94:95], v[62:63], v[60:61]
	v_mul_f64 v[66:67], v[72:73], s[4:5]
	v_mul_f64 v[70:71], v[68:69], s[4:5]
	v_mul_f64 v[72:73], v[72:73], 0.5
	v_mul_f64 v[68:69], v[68:69], -0.5
	v_fma_f64 v[74:75], v[74:75], -0.5, v[8:9]
	v_fma_f64 v[76:77], v[76:77], -0.5, v[10:11]
	v_fma_f64 v[88:89], v[80:81], s[4:5], v[0:1]
	v_fma_f64 v[0:1], v[80:81], s[6:7], v[0:1]
	v_mul_f64 v[80:81], v[82:83], s[4:5]
	v_mul_f64 v[90:91], v[2:3], s[4:5]
	v_mul_f64 v[82:83], v[82:83], 0.5
	v_mul_f64 v[2:3], v[2:3], -0.5
	v_add_f64 v[4:5], v[4:5], v[40:41]
	v_fma_f64 v[98:99], v[84:85], s[4:5], v[6:7]
	v_fma_f64 v[6:7], v[84:85], s[6:7], v[6:7]
	;; [unrolled: 1-line block ×4, first 2 shown]
	v_add_f64 v[62:63], v[92:93], v[96:97]
	v_fma_f64 v[102:103], v[14:15], 0.5, v[66:67]
	v_fma_f64 v[104:105], v[30:31], -0.5, v[70:71]
	v_fma_f64 v[106:107], v[14:15], s[6:7], v[72:73]
	v_fma_f64 v[108:109], v[30:31], s[6:7], v[68:69]
	;; [unrolled: 1-line block ×6, first 2 shown]
	v_add_f64 v[66:67], v[92:93], -v[96:97]
	v_mov_b32_e32 v86, 0x3c0
	v_fma_f64 v[30:31], v[88:89], 0.5, v[80:81]
	v_fma_f64 v[38:39], v[0:1], -0.5, v[90:91]
	v_fma_f64 v[44:45], v[88:89], s[6:7], v[82:83]
	v_fma_f64 v[46:47], v[0:1], s[6:7], v[2:3]
	v_add_f64 v[60:61], v[4:5], v[94:95]
	v_add_f64 v[64:65], v[4:5], -v[94:95]
	v_mul_u32_u24_sdwa v58, v58, v86 dst_sel:DWORD dst_unused:UNUSED_PAD src0_sel:WORD_0 src1_sel:DWORD
	v_add_f64 v[68:69], v[98:99], v[102:103]
	v_add_f64 v[72:73], v[6:7], v[104:105]
	v_add_f64 v[80:81], v[6:7], -v[104:105]
	v_add_f64 v[70:71], v[84:85], v[106:107]
	v_add_f64 v[74:75], v[100:101], v[108:109]
	v_add_f64 v[76:77], v[98:99], -v[102:103]
	v_add_f64 v[78:79], v[84:85], -v[106:107]
	;; [unrolled: 1-line block ×3, first 2 shown]
	v_lshlrev_b32_sdwa v84, v49, v110 dst_sel:DWORD dst_unused:UNUSED_PAD src0_sel:DWORD src1_sel:BYTE_0
	v_add_f64 v[0:1], v[12:13], -v[30:31]
	v_add_f64 v[4:5], v[14:15], -v[38:39]
	;; [unrolled: 1-line block ×4, first 2 shown]
	v_add3_u32 v58, 0, v58, v84
	ds_write_b128 v58, v[60:63]
	ds_write_b128 v58, v[64:67] offset:480
	ds_write_b128 v58, v[68:71] offset:160
	;; [unrolled: 1-line block ×5, first 2 shown]
	s_and_saveexec_b32 s1, s0
	s_cbranch_execz .LBB0_21
; %bb.20:
	v_add_f64 v[10:11], v[10:11], v[36:37]
	v_add_f64 v[32:33], v[32:33], v[34:35]
	;; [unrolled: 1-line block ×12, first 2 shown]
	v_mul_lo_u16 v12, v55, 60
	v_lshlrev_b32_sdwa v13, v49, v57 dst_sel:DWORD dst_unused:UNUSED_PAD src0_sel:DWORD src1_sel:WORD_0
	v_lshlrev_b32_sdwa v12, v49, v12 dst_sel:DWORD dst_unused:UNUSED_PAD src0_sel:DWORD src1_sel:WORD_0
	v_add3_u32 v12, 0, v13, v12
	v_add_f64 v[20:21], v[22:23], -v[26:27]
	v_add_f64 v[24:25], v[22:23], v[26:27]
	v_add_f64 v[22:23], v[28:29], v[18:19]
	v_add_f64 v[18:19], v[28:29], -v[18:19]
	ds_write_b128 v12, v[0:3] offset:640
	ds_write_b128 v12, v[14:17] offset:160
	;; [unrolled: 1-line block ×3, first 2 shown]
	ds_write_b128 v12, v[22:25]
	ds_write_b128 v12, v[18:21] offset:480
	ds_write_b128 v12, v[4:7] offset:800
.LBB0_21:
	s_or_b32 exec_lo, exec_lo, s1
	v_mul_lo_u16 v8, 0x89, v53
	v_mov_b32_e32 v9, 9
	s_waitcnt lgkmcnt(0)
	s_barrier
	buffer_gl0_inv
	v_lshrrev_b16 v12, 13, v8
	s_mov_b32 s6, 0x134454ff
	s_mov_b32 s7, 0xbfee6f0e
	;; [unrolled: 1-line block ×4, first 2 shown]
	v_mul_lo_u16 v8, v12, 60
	s_mov_b32 s5, 0x3fe2cf23
	s_mov_b32 s4, s10
	;; [unrolled: 1-line block ×4, first 2 shown]
	v_sub_nc_u16 v13, v48, v8
	s_mov_b32 s14, s12
	s_mov_b32 s19, 0xbfe9e377
	;; [unrolled: 1-line block ×3, first 2 shown]
	v_mov_b32_e32 v53, 0x2580
	v_mul_u32_u24_sdwa v8, v13, v9 dst_sel:DWORD dst_unused:UNUSED_PAD src0_sel:BYTE_0 src1_sel:DWORD
	v_lshlrev_b32_sdwa v13, v49, v13 dst_sel:DWORD dst_unused:UNUSED_PAD src0_sel:DWORD src1_sel:BYTE_0
	v_mul_u32_u24_sdwa v12, v12, v53 dst_sel:DWORD dst_unused:UNUSED_PAD src0_sel:WORD_0 src1_sel:DWORD
	v_lshlrev_b32_e32 v42, 4, v8
	s_clause 0x8
	global_load_dwordx4 v[8:11], v42, s[8:9] offset:816
	global_load_dwordx4 v[14:17], v42, s[8:9] offset:832
	;; [unrolled: 1-line block ×9, first 2 shown]
	ds_read_b128 v[60:63], v59 offset:5760
	ds_read_b128 v[64:67], v59 offset:8640
	ds_read_b128 v[68:71], v59 offset:25920
	ds_read_b128 v[72:75], v59 offset:14400
	ds_read_b128 v[76:79], v59 offset:20160
	ds_read_b128 v[80:83], v59 offset:11520
	ds_read_b128 v[84:87], v59 offset:23040
	ds_read_b128 v[88:91], v59 offset:17280
	ds_read_b128 v[92:95], v59 offset:2880
	ds_read_b128 v[96:99], v59
	v_add3_u32 v12, 0, v12, v13
	s_waitcnt vmcnt(0) lgkmcnt(0)
	s_barrier
	buffer_gl0_inv
	v_mul_f64 v[46:47], v[62:63], v[10:11]
	v_mul_f64 v[10:11], v[60:61], v[10:11]
	;; [unrolled: 1-line block ×14, first 2 shown]
	v_fma_f64 v[46:47], v[60:61], v[8:9], v[46:47]
	v_fma_f64 v[8:9], v[62:63], v[8:9], -v[10:11]
	v_mul_f64 v[10:11], v[74:75], v[24:25]
	v_mul_f64 v[24:25], v[78:79], v[28:29]
	;; [unrolled: 1-line block ×3, first 2 shown]
	v_fma_f64 v[57:58], v[66:67], v[14:15], -v[57:58]
	v_fma_f64 v[62:63], v[74:75], v[22:23], -v[102:103]
	;; [unrolled: 1-line block ×4, first 2 shown]
	v_fma_f64 v[70:71], v[80:81], v[30:31], v[106:107]
	v_fma_f64 v[30:31], v[82:83], v[30:31], -v[32:33]
	v_mul_f64 v[32:33], v[94:95], v[44:45]
	v_fma_f64 v[14:15], v[64:65], v[14:15], v[16:17]
	v_fma_f64 v[18:19], v[68:69], v[18:19], v[20:21]
	;; [unrolled: 1-line block ×4, first 2 shown]
	v_fma_f64 v[38:39], v[90:91], v[38:39], -v[40:41]
	v_fma_f64 v[34:35], v[86:87], v[34:35], -v[36:37]
	v_add_f64 v[86:87], v[98:99], v[8:9]
	v_fma_f64 v[10:11], v[72:73], v[22:23], v[10:11]
	v_fma_f64 v[16:17], v[76:77], v[26:27], v[24:25]
	v_fma_f64 v[20:21], v[94:95], v[42:43], -v[28:29]
	v_add_f64 v[90:91], v[57:58], -v[62:63]
	v_add_f64 v[24:25], v[62:63], v[66:67]
	v_add_f64 v[22:23], v[57:58], v[60:61]
	v_add_f64 v[64:65], v[46:47], -v[70:71]
	v_add_f64 v[82:83], v[70:71], -v[46:47]
	v_fma_f64 v[26:27], v[92:93], v[42:43], v[32:33]
	v_add_f64 v[92:93], v[60:61], -v[66:67]
	v_add_f64 v[72:73], v[14:15], v[18:19]
	v_add_f64 v[76:77], v[14:15], -v[18:19]
	v_add_f64 v[28:29], v[70:71], v[44:45]
	v_add_f64 v[36:37], v[30:31], v[38:39]
	;; [unrolled: 1-line block ×3, first 2 shown]
	v_add_f64 v[80:81], v[74:75], -v[44:45]
	v_add_f64 v[84:85], v[44:45], -v[74:75]
	;; [unrolled: 1-line block ×5, first 2 shown]
	v_add_f64 v[32:33], v[46:47], v[74:75]
	v_add_f64 v[42:43], v[96:97], v[46:47]
	;; [unrolled: 1-line block ×3, first 2 shown]
	v_add_f64 v[78:79], v[10:11], -v[16:17]
	v_add_f64 v[102:103], v[14:15], -v[10:11]
	;; [unrolled: 1-line block ×3, first 2 shown]
	v_fma_f64 v[24:25], v[24:25], -0.5, v[20:21]
	v_fma_f64 v[22:23], v[22:23], -0.5, v[20:21]
	v_add_f64 v[20:21], v[20:21], v[57:58]
	v_add_f64 v[57:58], v[57:58], -v[60:61]
	v_add_f64 v[88:89], v[26:27], v[14:15]
	v_add_f64 v[14:15], v[10:11], -v[14:15]
	v_add_f64 v[106:107], v[16:17], -v[18:19]
	;; [unrolled: 1-line block ×5, first 2 shown]
	v_fma_f64 v[28:29], v[28:29], -0.5, v[96:97]
	v_fma_f64 v[36:37], v[36:37], -0.5, v[98:99]
	;; [unrolled: 1-line block ×3, first 2 shown]
	v_add_f64 v[64:65], v[64:65], v[80:81]
	v_add_f64 v[80:81], v[82:83], v[84:85]
	;; [unrolled: 1-line block ×4, first 2 shown]
	v_add_f64 v[118:119], v[30:31], -v[38:39]
	v_fma_f64 v[68:69], v[68:69], -0.5, v[26:27]
	v_fma_f64 v[26:27], v[72:73], -0.5, v[26:27]
	;; [unrolled: 1-line block ×3, first 2 shown]
	v_add_f64 v[72:73], v[8:9], -v[30:31]
	v_fma_f64 v[112:113], v[76:77], s[0:1], v[24:25]
	v_fma_f64 v[114:115], v[78:79], s[6:7], v[22:23]
	;; [unrolled: 1-line block ×4, first 2 shown]
	v_add_f64 v[8:9], v[30:31], -v[8:9]
	v_add_f64 v[10:11], v[88:89], v[10:11]
	v_add_f64 v[42:43], v[42:43], v[70:71]
	;; [unrolled: 1-line block ×4, first 2 shown]
	v_add_f64 v[116:117], v[34:35], -v[38:39]
	v_add_f64 v[96:97], v[38:39], -v[34:35]
	v_add_f64 v[14:15], v[14:15], v[106:107]
	v_fma_f64 v[62:63], v[110:111], s[6:7], v[28:29]
	v_fma_f64 v[86:87], v[120:121], s[6:7], v[40:41]
	;; [unrolled: 1-line block ×12, first 2 shown]
	v_add_f64 v[76:77], v[102:103], v[104:105]
	v_fma_f64 v[78:79], v[46:47], s[0:1], v[36:37]
	v_fma_f64 v[70:71], v[118:119], s[0:1], v[32:33]
	;; [unrolled: 1-line block ×4, first 2 shown]
	v_add_f64 v[42:43], v[42:43], v[44:45]
	v_add_f64 v[30:31], v[30:31], v[38:39]
	;; [unrolled: 1-line block ×6, first 2 shown]
	v_fma_f64 v[20:21], v[118:119], s[10:11], v[62:63]
	v_fma_f64 v[62:63], v[46:47], s[4:5], v[86:87]
	;; [unrolled: 1-line block ×16, first 2 shown]
	v_add_f64 v[42:43], v[42:43], v[74:75]
	v_add_f64 v[30:31], v[30:31], v[34:35]
	;; [unrolled: 1-line block ×4, first 2 shown]
	v_fma_f64 v[60:61], v[64:65], s[12:13], v[20:21]
	v_fma_f64 v[62:63], v[8:9], s[12:13], v[62:63]
	;; [unrolled: 1-line block ×7, first 2 shown]
	v_mul_f64 v[26:27], v[57:58], s[10:11]
	v_mul_f64 v[57:58], v[57:58], s[16:17]
	;; [unrolled: 1-line block ×8, first 2 shown]
	v_fma_f64 v[44:45], v[72:73], s[12:13], v[44:45]
	v_fma_f64 v[74:75], v[80:81], s[12:13], v[38:39]
	;; [unrolled: 1-line block ×5, first 2 shown]
	v_add_f64 v[16:17], v[30:31], v[34:35]
	v_add_f64 v[18:19], v[42:43], -v[10:11]
	v_add_f64 v[20:21], v[30:31], -v[34:35]
	v_fma_f64 v[8:9], v[46:47], s[16:17], v[26:27]
	v_fma_f64 v[46:47], v[46:47], s[4:5], v[57:58]
	v_fma_f64 v[40:41], v[68:69], s[12:13], v[70:71]
	v_fma_f64 v[57:58], v[68:69], s[0:1], v[82:83]
	v_fma_f64 v[70:71], v[14:15], s[14:15], v[76:77]
	v_fma_f64 v[68:69], v[14:15], s[0:1], v[22:23]
	v_fma_f64 v[76:77], v[66:67], s[18:19], v[78:79]
	v_fma_f64 v[66:67], v[66:67], s[4:5], v[24:25]
	v_add_f64 v[14:15], v[42:43], v[10:11]
	v_cmp_gt_u32_e64 s0, 60, v48
	v_add_f64 v[22:23], v[60:61], v[8:9]
	v_add_f64 v[24:25], v[44:45], v[46:47]
	;; [unrolled: 1-line block ×8, first 2 shown]
	v_add_f64 v[38:39], v[60:61], -v[8:9]
	v_add_f64 v[42:43], v[74:75], -v[40:41]
	;; [unrolled: 1-line block ×8, first 2 shown]
	ds_write_b128 v12, v[14:17]
	ds_write_b128 v12, v[18:21] offset:4800
	ds_write_b128 v12, v[22:25] offset:960
	;; [unrolled: 1-line block ×9, first 2 shown]
	s_waitcnt lgkmcnt(0)
	s_barrier
	buffer_gl0_inv
	ds_read_b128 v[20:23], v59
	ds_read_b128 v[12:15], v59 offset:2880
	ds_read_b128 v[36:39], v59 offset:19200
	;; [unrolled: 1-line block ×8, first 2 shown]
	s_and_saveexec_b32 s1, s0
	s_cbranch_execz .LBB0_23
; %bb.22:
	ds_read_b128 v[8:11], v59 offset:8640
	ds_read_b128 v[0:3], v59 offset:18240
	;; [unrolled: 1-line block ×3, first 2 shown]
.LBB0_23:
	s_or_b32 exec_lo, exec_lo, s1
	v_lshlrev_b32_e32 v57, 1, v48
	v_mov_b32_e32 v58, 0
	s_mov_b32 s4, 0xe8584caa
	s_mov_b32 s5, 0xbfebb67a
	;; [unrolled: 1-line block ×4, first 2 shown]
	v_lshlrev_b64 v[60:61], 4, v[57:58]
	v_lshlrev_b32_e32 v57, 1, v54
	v_lshlrev_b64 v[64:65], 4, v[57:58]
	v_add_co_u32 v49, s1, s8, v60
	v_add_co_ci_u32_e64 v55, s1, s9, v61, s1
	v_lshlrev_b32_e32 v57, 1, v56
	v_add_co_u32 v53, s1, 0x2000, v49
	v_add_co_ci_u32_e64 v54, s1, 0, v55, s1
	v_add_co_u32 v60, s1, 0x24e0, v49
	v_add_co_ci_u32_e64 v61, s1, 0, v55, s1
	v_add_co_u32 v49, s1, s8, v64
	v_add_co_ci_u32_e64 v66, s1, s9, v65, s1
	v_lshlrev_b64 v[64:65], 4, v[57:58]
	v_add_co_u32 v68, s1, 0x24e0, v49
	v_add_co_ci_u32_e64 v69, s1, 0, v66, s1
	s_clause 0x1
	global_load_dwordx4 v[53:56], v[53:54], off offset:1248
	global_load_dwordx4 v[60:63], v[60:61], off offset:16
	v_add_co_u32 v57, s1, s8, v64
	v_add_co_ci_u32_e64 v67, s1, s9, v65, s1
	v_add_co_u32 v64, s1, 0x2000, v49
	v_add_co_ci_u32_e64 v65, s1, 0, v66, s1
	;; [unrolled: 2-line block ×4, first 2 shown]
	s_clause 0x3
	global_load_dwordx4 v[64:67], v[64:65], off offset:1248
	global_load_dwordx4 v[68:71], v[68:69], off offset:16
	;; [unrolled: 1-line block ×4, first 2 shown]
	s_waitcnt vmcnt(0) lgkmcnt(0)
	s_barrier
	buffer_gl0_inv
	v_mul_f64 v[80:81], v[46:47], v[55:56]
	v_mul_f64 v[82:83], v[38:39], v[62:63]
	;; [unrolled: 1-line block ×12, first 2 shown]
	v_fma_f64 v[44:45], v[44:45], v[53:54], v[80:81]
	v_fma_f64 v[36:37], v[36:37], v[60:61], v[82:83]
	v_fma_f64 v[46:47], v[46:47], v[53:54], -v[55:56]
	v_fma_f64 v[38:39], v[38:39], v[60:61], -v[62:63]
	v_fma_f64 v[40:41], v[40:41], v[64:65], v[84:85]
	v_fma_f64 v[24:25], v[24:25], v[68:69], v[86:87]
	v_fma_f64 v[42:43], v[42:43], v[64:65], -v[66:67]
	v_fma_f64 v[26:27], v[26:27], v[68:69], -v[70:71]
	;; [unrolled: 4-line block ×3, first 2 shown]
	v_add_f64 v[68:69], v[20:21], v[44:45]
	v_add_f64 v[53:54], v[44:45], v[36:37]
	v_add_f64 v[44:45], v[44:45], -v[36:37]
	v_add_f64 v[55:56], v[46:47], v[38:39]
	v_add_f64 v[70:71], v[46:47], -v[38:39]
	v_add_f64 v[46:47], v[22:23], v[46:47]
	v_add_f64 v[72:73], v[12:13], v[40:41]
	;; [unrolled: 1-line block ×9, first 2 shown]
	v_add_f64 v[42:43], v[42:43], -v[26:27]
	v_fma_f64 v[53:54], v[53:54], -0.5, v[20:21]
	v_add_f64 v[40:41], v[40:41], -v[24:25]
	v_fma_f64 v[55:56], v[55:56], -0.5, v[22:23]
	v_add_f64 v[80:81], v[30:31], -v[34:35]
	v_add_f64 v[82:83], v[28:29], -v[32:33]
	v_fma_f64 v[60:61], v[60:61], -0.5, v[12:13]
	v_add_f64 v[12:13], v[68:69], v[36:37]
	v_fma_f64 v[62:63], v[62:63], -0.5, v[14:15]
	v_add_f64 v[14:15], v[46:47], v[38:39]
	;; [unrolled: 2-line block ×4, first 2 shown]
	v_add_f64 v[20:21], v[76:77], v[32:33]
	v_add_f64 v[22:23], v[78:79], v[34:35]
	v_fma_f64 v[24:25], v[70:71], s[4:5], v[53:54]
	v_fma_f64 v[26:27], v[44:45], s[6:7], v[55:56]
	;; [unrolled: 1-line block ×12, first 2 shown]
	ds_write_b128 v59, v[12:15]
	ds_write_b128 v59, v[16:19] offset:2880
	ds_write_b128 v59, v[20:23] offset:5760
	;; [unrolled: 1-line block ×8, first 2 shown]
	s_and_saveexec_b32 s1, s0
	s_cbranch_execz .LBB0_25
; %bb.24:
	v_subrev_nc_u32_e32 v12, 60, v48
	v_cndmask_b32_e64 v12, v12, v52, s0
	v_lshlrev_b32_e32 v57, 1, v12
	v_lshlrev_b64 v[12:13], 4, v[57:58]
	v_add_co_u32 v14, s0, s8, v12
	v_add_co_ci_u32_e64 v15, s0, s9, v13, s0
	v_add_co_u32 v12, s0, 0x2000, v14
	v_add_co_ci_u32_e64 v13, s0, 0, v15, s0
	;; [unrolled: 2-line block ×3, first 2 shown]
	s_clause 0x1
	global_load_dwordx4 v[12:15], v[12:13], off offset:1248
	global_load_dwordx4 v[16:19], v[16:17], off offset:16
	s_waitcnt vmcnt(1)
	v_mul_f64 v[20:21], v[0:1], v[14:15]
	s_waitcnt vmcnt(0)
	v_mul_f64 v[22:23], v[4:5], v[18:19]
	v_mul_f64 v[14:15], v[2:3], v[14:15]
	v_mul_f64 v[18:19], v[6:7], v[18:19]
	v_fma_f64 v[2:3], v[2:3], v[12:13], -v[20:21]
	v_fma_f64 v[6:7], v[6:7], v[16:17], -v[22:23]
	v_fma_f64 v[0:1], v[0:1], v[12:13], v[14:15]
	v_fma_f64 v[4:5], v[4:5], v[16:17], v[18:19]
	v_add_f64 v[18:19], v[10:11], v[2:3]
	v_add_f64 v[12:13], v[2:3], v[6:7]
	;; [unrolled: 1-line block ×3, first 2 shown]
	v_add_f64 v[16:17], v[0:1], -v[4:5]
	v_add_f64 v[0:1], v[8:9], v[0:1]
	v_fma_f64 v[10:11], v[12:13], -0.5, v[10:11]
	v_add_f64 v[12:13], v[2:3], -v[6:7]
	v_fma_f64 v[14:15], v[14:15], -0.5, v[8:9]
	v_add_f64 v[2:3], v[18:19], v[6:7]
	v_add_f64 v[0:1], v[0:1], v[4:5]
	v_fma_f64 v[6:7], v[16:17], s[4:5], v[10:11]
	v_fma_f64 v[10:11], v[16:17], s[6:7], v[10:11]
	;; [unrolled: 1-line block ×4, first 2 shown]
	ds_write_b128 v59, v[0:3] offset:8640
	ds_write_b128 v59, v[8:11] offset:18240
	;; [unrolled: 1-line block ×3, first 2 shown]
.LBB0_25:
	s_or_b32 exec_lo, exec_lo, s1
	s_waitcnt lgkmcnt(0)
	s_barrier
	buffer_gl0_inv
	s_and_saveexec_b32 s0, vcc_lo
	s_cbranch_execz .LBB0_27
; %bb.26:
	v_mov_b32_e32 v49, 0
	v_lshl_add_u32 v30, v48, 4, 0
	v_add_nc_u32_e32 v8, 0xb4, v48
	v_add_co_u32 v31, vcc_lo, s2, v50
	v_mov_b32_e32 v9, v49
	v_lshlrev_b64 v[12:13], 4, v[48:49]
	ds_read_b128 v[0:3], v30
	ds_read_b128 v[4:7], v30 offset:2880
	v_add_co_ci_u32_e32 v32, vcc_lo, s3, v51, vcc_lo
	v_lshlrev_b64 v[14:15], 4, v[8:9]
	ds_read_b128 v[8:11], v30 offset:5760
	v_add_nc_u32_e32 v16, 0x168, v48
	v_mov_b32_e32 v17, v49
	v_add_co_u32 v20, vcc_lo, v31, v12
	v_add_co_ci_u32_e32 v21, vcc_lo, v32, v13, vcc_lo
	v_lshlrev_b64 v[12:13], 4, v[16:17]
	v_add_nc_u32_e32 v16, 0x21c, v48
	v_add_co_u32 v22, vcc_lo, v31, v14
	v_add_co_ci_u32_e32 v23, vcc_lo, v32, v15, vcc_lo
	v_lshlrev_b64 v[26:27], 4, v[16:17]
	ds_read_b128 v[16:19], v30 offset:11520
	v_add_co_u32 v24, vcc_lo, v31, v12
	v_add_nc_u32_e32 v28, 0x2d0, v48
	v_mov_b32_e32 v29, v49
	v_add_co_ci_u32_e32 v25, vcc_lo, v32, v13, vcc_lo
	ds_read_b128 v[12:15], v30 offset:8640
	s_waitcnt lgkmcnt(4)
	global_store_dwordx4 v[20:21], v[0:3], off
	s_waitcnt lgkmcnt(3)
	global_store_dwordx4 v[22:23], v[4:7], off
	s_waitcnt lgkmcnt(2)
	global_store_dwordx4 v[24:25], v[8:11], off
	v_lshlrev_b64 v[0:1], 4, v[28:29]
	v_add_co_u32 v2, vcc_lo, v31, v26
	v_add_co_ci_u32_e32 v3, vcc_lo, v32, v27, vcc_lo
	v_add_nc_u32_e32 v4, 0x384, v48
	v_mov_b32_e32 v5, v49
	v_add_co_u32 v6, vcc_lo, v31, v0
	v_add_co_ci_u32_e32 v7, vcc_lo, v32, v1, vcc_lo
	v_add_nc_u32_e32 v8, 0x438, v48
	v_mov_b32_e32 v9, v49
	v_lshlrev_b64 v[4:5], 4, v[4:5]
	s_waitcnt lgkmcnt(1)
	global_store_dwordx4 v[6:7], v[16:19], off
	v_add_nc_u32_e32 v24, 0x5a0, v48
	v_mov_b32_e32 v25, v49
	v_lshlrev_b64 v[6:7], 4, v[8:9]
	s_waitcnt lgkmcnt(0)
	global_store_dwordx4 v[2:3], v[12:15], off
	v_add_co_u32 v20, vcc_lo, v31, v4
	v_add_nc_u32_e32 v12, 0x4ec, v48
	v_mov_b32_e32 v13, v49
	v_add_co_ci_u32_e32 v21, vcc_lo, v32, v5, vcc_lo
	v_add_co_u32 v22, vcc_lo, v31, v6
	ds_read_b128 v[0:3], v30 offset:14400
	v_add_co_ci_u32_e32 v23, vcc_lo, v32, v7, vcc_lo
	ds_read_b128 v[4:7], v30 offset:17280
	ds_read_b128 v[8:11], v30 offset:20160
	v_lshlrev_b64 v[26:27], 4, v[12:13]
	ds_read_b128 v[12:15], v30 offset:23040
	ds_read_b128 v[16:19], v30 offset:25920
	v_add_nc_u32_e32 v48, 0x654, v48
	v_lshlrev_b64 v[24:25], 4, v[24:25]
	v_add_co_u32 v26, vcc_lo, v31, v26
	v_lshlrev_b64 v[28:29], 4, v[48:49]
	v_add_co_ci_u32_e32 v27, vcc_lo, v32, v27, vcc_lo
	v_add_co_u32 v24, vcc_lo, v31, v24
	v_add_co_ci_u32_e32 v25, vcc_lo, v32, v25, vcc_lo
	v_add_co_u32 v28, vcc_lo, v31, v28
	v_add_co_ci_u32_e32 v29, vcc_lo, v32, v29, vcc_lo
	s_waitcnt lgkmcnt(4)
	global_store_dwordx4 v[20:21], v[0:3], off
	s_waitcnt lgkmcnt(3)
	global_store_dwordx4 v[22:23], v[4:7], off
	;; [unrolled: 2-line block ×5, first 2 shown]
.LBB0_27:
	s_endpgm
	.section	.rodata,"a",@progbits
	.p2align	6, 0x0
	.amdhsa_kernel fft_rtc_back_len1800_factors_10_6_10_3_wgs_180_tpt_180_halfLds_dp_ip_CI_unitstride_sbrr_C2R_dirReg
		.amdhsa_group_segment_fixed_size 0
		.amdhsa_private_segment_fixed_size 0
		.amdhsa_kernarg_size 88
		.amdhsa_user_sgpr_count 6
		.amdhsa_user_sgpr_private_segment_buffer 1
		.amdhsa_user_sgpr_dispatch_ptr 0
		.amdhsa_user_sgpr_queue_ptr 0
		.amdhsa_user_sgpr_kernarg_segment_ptr 1
		.amdhsa_user_sgpr_dispatch_id 0
		.amdhsa_user_sgpr_flat_scratch_init 0
		.amdhsa_user_sgpr_private_segment_size 0
		.amdhsa_wavefront_size32 1
		.amdhsa_uses_dynamic_stack 0
		.amdhsa_system_sgpr_private_segment_wavefront_offset 0
		.amdhsa_system_sgpr_workgroup_id_x 1
		.amdhsa_system_sgpr_workgroup_id_y 0
		.amdhsa_system_sgpr_workgroup_id_z 0
		.amdhsa_system_sgpr_workgroup_info 0
		.amdhsa_system_vgpr_workitem_id 0
		.amdhsa_next_free_vgpr 122
		.amdhsa_next_free_sgpr 21
		.amdhsa_reserve_vcc 1
		.amdhsa_reserve_flat_scratch 0
		.amdhsa_float_round_mode_32 0
		.amdhsa_float_round_mode_16_64 0
		.amdhsa_float_denorm_mode_32 3
		.amdhsa_float_denorm_mode_16_64 3
		.amdhsa_dx10_clamp 1
		.amdhsa_ieee_mode 1
		.amdhsa_fp16_overflow 0
		.amdhsa_workgroup_processor_mode 1
		.amdhsa_memory_ordered 1
		.amdhsa_forward_progress 0
		.amdhsa_shared_vgpr_count 0
		.amdhsa_exception_fp_ieee_invalid_op 0
		.amdhsa_exception_fp_denorm_src 0
		.amdhsa_exception_fp_ieee_div_zero 0
		.amdhsa_exception_fp_ieee_overflow 0
		.amdhsa_exception_fp_ieee_underflow 0
		.amdhsa_exception_fp_ieee_inexact 0
		.amdhsa_exception_int_div_zero 0
	.end_amdhsa_kernel
	.text
.Lfunc_end0:
	.size	fft_rtc_back_len1800_factors_10_6_10_3_wgs_180_tpt_180_halfLds_dp_ip_CI_unitstride_sbrr_C2R_dirReg, .Lfunc_end0-fft_rtc_back_len1800_factors_10_6_10_3_wgs_180_tpt_180_halfLds_dp_ip_CI_unitstride_sbrr_C2R_dirReg
                                        ; -- End function
	.section	.AMDGPU.csdata,"",@progbits
; Kernel info:
; codeLenInByte = 9652
; NumSgprs: 23
; NumVgprs: 122
; ScratchSize: 0
; MemoryBound: 0
; FloatMode: 240
; IeeeMode: 1
; LDSByteSize: 0 bytes/workgroup (compile time only)
; SGPRBlocks: 2
; VGPRBlocks: 15
; NumSGPRsForWavesPerEU: 23
; NumVGPRsForWavesPerEU: 122
; Occupancy: 8
; WaveLimiterHint : 1
; COMPUTE_PGM_RSRC2:SCRATCH_EN: 0
; COMPUTE_PGM_RSRC2:USER_SGPR: 6
; COMPUTE_PGM_RSRC2:TRAP_HANDLER: 0
; COMPUTE_PGM_RSRC2:TGID_X_EN: 1
; COMPUTE_PGM_RSRC2:TGID_Y_EN: 0
; COMPUTE_PGM_RSRC2:TGID_Z_EN: 0
; COMPUTE_PGM_RSRC2:TIDIG_COMP_CNT: 0
	.text
	.p2alignl 6, 3214868480
	.fill 48, 4, 3214868480
	.type	__hip_cuid_606483aa0bd345d7,@object ; @__hip_cuid_606483aa0bd345d7
	.section	.bss,"aw",@nobits
	.globl	__hip_cuid_606483aa0bd345d7
__hip_cuid_606483aa0bd345d7:
	.byte	0                               ; 0x0
	.size	__hip_cuid_606483aa0bd345d7, 1

	.ident	"AMD clang version 19.0.0git (https://github.com/RadeonOpenCompute/llvm-project roc-6.4.0 25133 c7fe45cf4b819c5991fe208aaa96edf142730f1d)"
	.section	".note.GNU-stack","",@progbits
	.addrsig
	.addrsig_sym __hip_cuid_606483aa0bd345d7
	.amdgpu_metadata
---
amdhsa.kernels:
  - .args:
      - .actual_access:  read_only
        .address_space:  global
        .offset:         0
        .size:           8
        .value_kind:     global_buffer
      - .offset:         8
        .size:           8
        .value_kind:     by_value
      - .actual_access:  read_only
        .address_space:  global
        .offset:         16
        .size:           8
        .value_kind:     global_buffer
      - .actual_access:  read_only
        .address_space:  global
        .offset:         24
        .size:           8
        .value_kind:     global_buffer
      - .offset:         32
        .size:           8
        .value_kind:     by_value
      - .actual_access:  read_only
        .address_space:  global
        .offset:         40
        .size:           8
        .value_kind:     global_buffer
      - .actual_access:  read_only
        .address_space:  global
        .offset:         48
        .size:           8
        .value_kind:     global_buffer
      - .offset:         56
        .size:           4
        .value_kind:     by_value
      - .actual_access:  read_only
        .address_space:  global
        .offset:         64
        .size:           8
        .value_kind:     global_buffer
      - .actual_access:  read_only
        .address_space:  global
        .offset:         72
        .size:           8
        .value_kind:     global_buffer
      - .address_space:  global
        .offset:         80
        .size:           8
        .value_kind:     global_buffer
    .group_segment_fixed_size: 0
    .kernarg_segment_align: 8
    .kernarg_segment_size: 88
    .language:       OpenCL C
    .language_version:
      - 2
      - 0
    .max_flat_workgroup_size: 180
    .name:           fft_rtc_back_len1800_factors_10_6_10_3_wgs_180_tpt_180_halfLds_dp_ip_CI_unitstride_sbrr_C2R_dirReg
    .private_segment_fixed_size: 0
    .sgpr_count:     23
    .sgpr_spill_count: 0
    .symbol:         fft_rtc_back_len1800_factors_10_6_10_3_wgs_180_tpt_180_halfLds_dp_ip_CI_unitstride_sbrr_C2R_dirReg.kd
    .uniform_work_group_size: 1
    .uses_dynamic_stack: false
    .vgpr_count:     122
    .vgpr_spill_count: 0
    .wavefront_size: 32
    .workgroup_processor_mode: 1
amdhsa.target:   amdgcn-amd-amdhsa--gfx1030
amdhsa.version:
  - 1
  - 2
...

	.end_amdgpu_metadata
